;; amdgpu-corpus repo=FlagOpen/FlagGems kind=triton arch=gfx950 opt=O3 lang=triton
	.amdgcn_target "amdgcn-amd-amdhsa--gfx950"
	.amdhsa_code_object_version 5
	.text
	.globl	_repetition_penalty_kernel      ; -- Begin function _repetition_penalty_kernel
	.p2align	8
	.type	_repetition_penalty_kernel,@function
_repetition_penalty_kernel:             ; @_repetition_penalty_kernel
.Lfunc_begin0:
	.cfi_sections .debug_frame
	.cfi_startproc
; %bb.34:
	.file	1 "/root/src/amdgpu-assembly/repos/FlagOpen__FlagGems/triton_aot_kernels" "apply_repetition_penalties_aot.py"
	.loc	1 8 0 prologue_end              ; apply_repetition_penalties_aot.py:8:0
	s_load_dwordx2 s[2:3], s[0:1], 0x0
	s_load_dwordx8 s[4:11], s[0:1], 0x8
	s_load_dwordx4 s[12:15], s[0:1], 0x28
	s_waitcnt lgkmcnt(0)
	s_branch .LBB0_0
	.loc	1 0 0 is_stmt 0                 ; :0:0
.Ltmp0:
	.p2align	8
; %bb.35:
.LBB0_0:
.Ltmp1:
	.loc	1 20 18 is_stmt 1               ; apply_repetition_penalties_aot.py:20:18
	s_cmp_lt_i32 s16, s10
	.loc	1 25 44                         ; apply_repetition_penalties_aot.py:25:44
	v_readfirstlane_b32 s1, v0
	.loc	1 20 18                         ; apply_repetition_penalties_aot.py:20:18
	s_cbranch_scc0 .LBB0_24
; %bb.1:
	.loc	1 41 38                         ; apply_repetition_penalties_aot.py:41:38
	s_and_b32 s1, s1, 0xc0
	s_mov_b32 s0, s17
	.loc	1 23 38                         ; apply_repetition_penalties_aot.py:23:38
	s_ashr_i32 s17, s16, 31
	.loc	1 25 44                         ; apply_repetition_penalties_aot.py:25:44
	v_and_or_b32 v0, v0, 63, s1
	.loc	1 23 38                         ; apply_repetition_penalties_aot.py:23:38
	s_lshl_b64 s[12:13], s[16:17], 2
	.loc	1 25 31                         ; apply_repetition_penalties_aot.py:25:31
	v_lshl_or_b32 v6, s0, 10, v0
	.loc	1 29 27                         ; apply_repetition_penalties_aot.py:29:27
	s_mul_i32 s0, s11, s16
	.loc	1 23 38                         ; apply_repetition_penalties_aot.py:23:38
	s_add_u32 s14, s8, s12
	.loc	1 29 40                         ; apply_repetition_penalties_aot.py:29:40
	v_add_u32_e32 v0, s0, v6
	.loc	1 23 38                         ; apply_repetition_penalties_aot.py:23:38
	s_addc_u32 s15, s9, s13
	.loc	1 27 30                         ; apply_repetition_penalties_aot.py:27:30
	v_cmp_gt_i32_e32 vcc, s11, v6
	v_mov_b32_e32 v11, 0
	v_mov_b32_e32 v12, 0
	v_ashrrev_i32_e32 v1, 31, v0
	v_mov_b32_e32 v13, 0
	.loc	1 32 26                         ; apply_repetition_penalties_aot.py:32:26
	s_and_saveexec_b64 s[0:1], vcc
	s_cbranch_execz .LBB0_3
; %bb.2:
	.loc	1 0 26 is_stmt 0                ; apply_repetition_penalties_aot.py:0:26
	v_lshl_add_u64 v[2:3], s[4:5], 0, v[0:1]
	.loc	1 32 26                         ; apply_repetition_penalties_aot.py:32:26
	global_load_ubyte v11, v[2:3], off
	s_waitcnt vmcnt(0)
	v_and_b32_e32 v13, 0xffff, v11
.LBB0_3:
	.loc	1 0 26                          ; apply_repetition_penalties_aot.py:0:26
	s_or_b64 exec, exec, s[0:1]
	.loc	1 25 31 is_stmt 1               ; apply_repetition_penalties_aot.py:25:31
	v_or_b32_e32 v2, 0x100, v6
	.loc	1 27 30                         ; apply_repetition_penalties_aot.py:27:30
	v_cmp_gt_i32_e64 s[12:13], s11, v2
	.loc	1 29 40                         ; apply_repetition_penalties_aot.py:29:40
	v_add_u32_e32 v2, 0x100, v0
	.loc	1 32 44                         ; apply_repetition_penalties_aot.py:32:44
	v_ashrrev_i32_e32 v3, 31, v2
	v_mov_b32_e32 v10, 0
	.loc	1 32 26 is_stmt 0               ; apply_repetition_penalties_aot.py:32:26
	s_and_saveexec_b64 s[0:1], s[12:13]
	s_cbranch_execz .LBB0_5
; %bb.4:
	.loc	1 32 44                         ; apply_repetition_penalties_aot.py:32:44
	v_lshl_add_u64 v[4:5], s[4:5], 0, v[2:3]
	.loc	1 32 26                         ; apply_repetition_penalties_aot.py:32:26
	global_load_ubyte v10, v[4:5], off
	s_waitcnt vmcnt(0)
	v_and_b32_e32 v12, 0xffff, v10
.LBB0_5:
	.loc	1 0 26                          ; apply_repetition_penalties_aot.py:0:26
	s_or_b64 exec, exec, s[0:1]
	.loc	1 25 31 is_stmt 1               ; apply_repetition_penalties_aot.py:25:31
	v_or_b32_e32 v4, 0x200, v6
	.loc	1 27 30                         ; apply_repetition_penalties_aot.py:27:30
	v_cmp_gt_i32_e64 s[8:9], s11, v4
	.loc	1 29 40                         ; apply_repetition_penalties_aot.py:29:40
	v_add_u32_e32 v4, 0x200, v0
	.loc	1 32 44                         ; apply_repetition_penalties_aot.py:32:44
	v_ashrrev_i32_e32 v5, 31, v4
	v_mov_b32_e32 v9, 0
	v_mov_b32_e32 v14, 0
	;; [unrolled: 1-line block ×3, first 2 shown]
	.loc	1 32 26 is_stmt 0               ; apply_repetition_penalties_aot.py:32:26
	s_and_saveexec_b64 s[0:1], s[8:9]
	s_cbranch_execz .LBB0_7
; %bb.6:
	.loc	1 32 44                         ; apply_repetition_penalties_aot.py:32:44
	v_lshl_add_u64 v[8:9], s[4:5], 0, v[4:5]
	.loc	1 32 26                         ; apply_repetition_penalties_aot.py:32:26
	global_load_ubyte v9, v[8:9], off
	s_waitcnt vmcnt(0)
	v_and_b32_e32 v15, 0xffff, v9
.LBB0_7:
	.loc	1 0 26                          ; apply_repetition_penalties_aot.py:0:26
	s_or_b64 exec, exec, s[0:1]
	.loc	1 25 31 is_stmt 1               ; apply_repetition_penalties_aot.py:25:31
	v_or_b32_e32 v6, 0x300, v6
	.loc	1 27 30                         ; apply_repetition_penalties_aot.py:27:30
	v_cmp_gt_i32_e64 s[0:1], s11, v6
	.loc	1 29 40                         ; apply_repetition_penalties_aot.py:29:40
	v_add_u32_e32 v6, 0x300, v0
	.loc	1 32 44                         ; apply_repetition_penalties_aot.py:32:44
	v_ashrrev_i32_e32 v7, 31, v6
	v_mov_b32_e32 v8, 0
	.loc	1 32 26 is_stmt 0               ; apply_repetition_penalties_aot.py:32:26
	s_and_saveexec_b64 s[10:11], s[0:1]
	s_cbranch_execnz .LBB0_25
; %bb.8:
	.loc	1 0 26                          ; apply_repetition_penalties_aot.py:0:26
	s_or_b64 exec, exec, s[10:11]
	.loc	1 33 26 is_stmt 1               ; apply_repetition_penalties_aot.py:33:26
	s_and_saveexec_b64 s[4:5], vcc
	s_cbranch_execnz .LBB0_26
.LBB0_9:
	.loc	1 0 26 is_stmt 0                ; apply_repetition_penalties_aot.py:0:26
	s_or_b64 exec, exec, s[4:5]
	.loc	1 33 26                         ; apply_repetition_penalties_aot.py:33:26
	s_and_saveexec_b64 s[4:5], s[12:13]
	s_cbranch_execnz .LBB0_27
.LBB0_10:
	.loc	1 0 26                          ; apply_repetition_penalties_aot.py:0:26
	s_or_b64 exec, exec, s[4:5]
	.loc	1 33 26                         ; apply_repetition_penalties_aot.py:33:26
	s_and_saveexec_b64 s[4:5], s[8:9]
	s_cbranch_execnz .LBB0_28
.LBB0_11:
	.loc	1 0 26                          ; apply_repetition_penalties_aot.py:0:26
	s_or_b64 exec, exec, s[4:5]
	.loc	1 33 26                         ; apply_repetition_penalties_aot.py:33:26
	s_and_saveexec_b64 s[4:5], s[0:1]
	s_cbranch_execz .LBB0_13
.LBB0_12:
	.loc	1 33 44                         ; apply_repetition_penalties_aot.py:33:44
	v_lshl_add_u64 v[2:3], s[6:7], 0, v[6:7]
	.loc	1 33 26                         ; apply_repetition_penalties_aot.py:33:26
	global_load_ubyte v2, v[2:3], off
	.loc	1 36 32 is_stmt 1               ; apply_repetition_penalties_aot.py:36:32
	s_waitcnt vmcnt(0)
	v_or_b32_e32 v8, v2, v14
.LBB0_13:
	.loc	1 0 32 is_stmt 0                ; apply_repetition_penalties_aot.py:0:32
	s_or_b64 exec, exec, s[4:5]
	.loc	1 34 21 is_stmt 1               ; apply_repetition_penalties_aot.py:34:21
	v_mov_b32_e32 v4, 0
	.loc	1 34 34 is_stmt 0               ; apply_repetition_penalties_aot.py:34:34
	v_lshl_add_u64 v[0:1], v[0:1], 2, s[2:3]
	v_mov_b32_e32 v5, v4
	.loc	1 34 21                         ; apply_repetition_penalties_aot.py:34:21
	s_and_saveexec_b64 s[2:3], vcc
	s_cbranch_execz .LBB0_15
; %bb.14:
	global_load_dword v5, v[0:1], off
.LBB0_15:
	.loc	1 0 21                          ; apply_repetition_penalties_aot.py:0:21
	s_or_b64 exec, exec, s[2:3]
	.loc	1 34 21                         ; apply_repetition_penalties_aot.py:34:21
	s_and_saveexec_b64 s[2:3], s[12:13]
	s_cbranch_execz .LBB0_17
; %bb.16:
	global_load_dword v4, v[0:1], off offset:1024
.LBB0_17:
	.loc	1 0 21                          ; apply_repetition_penalties_aot.py:0:21
	s_or_b64 exec, exec, s[2:3]
	.loc	1 34 21                         ; apply_repetition_penalties_aot.py:34:21
	v_mov_b32_e32 v2, 0
	v_mov_b32_e32 v3, v2
	s_and_saveexec_b64 s[2:3], s[8:9]
	s_cbranch_execnz .LBB0_29
; %bb.18:
	.loc	1 0 21                          ; apply_repetition_penalties_aot.py:0:21
	s_or_b64 exec, exec, s[2:3]
	s_load_dword s10, s[14:15], 0x0
	.loc	1 34 21                         ; apply_repetition_penalties_aot.py:34:21
	s_and_saveexec_b64 s[2:3], s[0:1]
	s_cbranch_execnz .LBB0_30
.LBB0_19:
	.loc	1 0 21                          ; apply_repetition_penalties_aot.py:0:21
	s_or_b64 exec, exec, s[2:3]
	.loc	1 41 38 is_stmt 1               ; apply_repetition_penalties_aot.py:41:38
	s_and_saveexec_b64 s[6:7], vcc
	s_cbranch_execnz .LBB0_31
.LBB0_20:
	.loc	1 0 38 is_stmt 0                ; apply_repetition_penalties_aot.py:0:38
	s_or_b64 exec, exec, s[6:7]
	.loc	1 41 38                         ; apply_repetition_penalties_aot.py:41:38
	s_and_saveexec_b64 s[4:5], s[12:13]
	s_cbranch_execnz .LBB0_32
.LBB0_21:
	.loc	1 0 38                          ; apply_repetition_penalties_aot.py:0:38
	s_or_b64 exec, exec, s[4:5]
	.loc	1 41 38                         ; apply_repetition_penalties_aot.py:41:38
	s_and_saveexec_b64 s[4:5], s[8:9]
	s_cbranch_execnz .LBB0_33
.LBB0_22:
	.loc	1 0 38                          ; apply_repetition_penalties_aot.py:0:38
	s_or_b64 exec, exec, s[4:5]
	.loc	1 41 38                         ; apply_repetition_penalties_aot.py:41:38
	s_and_saveexec_b64 s[2:3], s[0:1]
	s_xor_b64 s[2:3], exec, s[2:3]
	s_cbranch_execz .LBB0_24
.LBB0_23:
	.loc	1 38 59 is_stmt 1               ; apply_repetition_penalties_aot.py:38:59
	s_waitcnt vmcnt(0) lgkmcnt(0)
	v_div_scale_f32 v3, s[0:1], s10, s10, v2
	v_rcp_f32_e32 v4, v3
	.loc	1 38 37 is_stmt 0               ; apply_repetition_penalties_aot.py:38:37
	v_and_b32_e32 v5, 1, v8
	.loc	1 38 46                         ; apply_repetition_penalties_aot.py:38:46
	v_cmp_nlt_f32_e64 s[0:1], 0, v2
	.loc	1 38 59                         ; apply_repetition_penalties_aot.py:38:59
	v_fma_f32 v6, -v3, v4, 1.0
	v_fmac_f32_e32 v4, v6, v4
	v_div_scale_f32 v6, vcc, v2, s10, v2
	v_mul_f32_e32 v7, v6, v4
	v_fma_f32 v8, -v3, v7, v6
	v_fmac_f32_e32 v7, v8, v4
	v_fma_f32 v3, -v3, v7, v6
	v_div_fmas_f32 v3, v3, v4, v7
	.loc	1 38 68                         ; apply_repetition_penalties_aot.py:38:68
	v_cmp_eq_u16_e32 vcc, 0, v5
	.loc	1 38 59                         ; apply_repetition_penalties_aot.py:38:59
	v_div_fixup_f32 v3, v3, s10, v2
	.loc	1 38 37                         ; apply_repetition_penalties_aot.py:38:37
	s_or_b64 s[0:1], s[0:1], vcc
	.loc	1 38 68                         ; apply_repetition_penalties_aot.py:38:68
	v_cndmask_b32_e64 v2, v3, v2, s[0:1]
	.loc	1 39 47 is_stmt 1               ; apply_repetition_penalties_aot.py:39:47
	v_cmp_nge_f32_e64 s[0:1], 0, v2
	.loc	1 39 60 is_stmt 0               ; apply_repetition_penalties_aot.py:39:60
	v_mul_f32_e32 v3, s10, v2
	.loc	1 39 37                         ; apply_repetition_penalties_aot.py:39:37
	s_or_b64 vcc, s[0:1], vcc
	.loc	1 39 69                         ; apply_repetition_penalties_aot.py:39:69
	v_cndmask_b32_e32 v2, v3, v2, vcc
	.loc	1 41 38 is_stmt 1               ; apply_repetition_penalties_aot.py:41:38
	global_store_dword v[0:1], v2, off offset:3072
.LBB0_24:
	.loc	1 21 8                          ; apply_repetition_penalties_aot.py:21:8
	s_endpgm
.LBB0_25:
	.loc	1 32 44                         ; apply_repetition_penalties_aot.py:32:44
	v_lshl_add_u64 v[16:17], s[4:5], 0, v[6:7]
	.loc	1 32 26 is_stmt 0               ; apply_repetition_penalties_aot.py:32:26
	global_load_ubyte v8, v[16:17], off
	s_waitcnt vmcnt(0)
	v_and_b32_e32 v14, 0xffff, v8
	s_or_b64 exec, exec, s[10:11]
	.loc	1 33 26 is_stmt 1               ; apply_repetition_penalties_aot.py:33:26
	s_and_saveexec_b64 s[4:5], vcc
	s_cbranch_execz .LBB0_9
.LBB0_26:
	.loc	1 0 26 is_stmt 0                ; apply_repetition_penalties_aot.py:0:26
	v_lshl_add_u64 v[16:17], s[6:7], 0, v[0:1]
	.loc	1 33 26                         ; apply_repetition_penalties_aot.py:33:26
	global_load_ubyte v11, v[16:17], off
	.loc	1 36 32 is_stmt 1               ; apply_repetition_penalties_aot.py:36:32
	s_waitcnt vmcnt(0)
	v_or_b32_e32 v11, v11, v13
	s_or_b64 exec, exec, s[4:5]
	.loc	1 33 26                         ; apply_repetition_penalties_aot.py:33:26
	s_and_saveexec_b64 s[4:5], s[12:13]
	s_cbranch_execz .LBB0_10
.LBB0_27:
	.loc	1 33 44 is_stmt 0               ; apply_repetition_penalties_aot.py:33:44
	v_lshl_add_u64 v[2:3], s[6:7], 0, v[2:3]
	.loc	1 33 26                         ; apply_repetition_penalties_aot.py:33:26
	global_load_ubyte v2, v[2:3], off
	.loc	1 36 32 is_stmt 1               ; apply_repetition_penalties_aot.py:36:32
	s_waitcnt vmcnt(0)
	v_or_b32_e32 v10, v2, v12
	s_or_b64 exec, exec, s[4:5]
	.loc	1 33 26                         ; apply_repetition_penalties_aot.py:33:26
	s_and_saveexec_b64 s[4:5], s[8:9]
	s_cbranch_execz .LBB0_11
.LBB0_28:
	.loc	1 33 44 is_stmt 0               ; apply_repetition_penalties_aot.py:33:44
	v_lshl_add_u64 v[2:3], s[6:7], 0, v[4:5]
	.loc	1 33 26                         ; apply_repetition_penalties_aot.py:33:26
	global_load_ubyte v2, v[2:3], off
	.loc	1 36 32 is_stmt 1               ; apply_repetition_penalties_aot.py:36:32
	s_waitcnt vmcnt(0)
	v_or_b32_e32 v9, v2, v15
	s_or_b64 exec, exec, s[4:5]
	.loc	1 33 26                         ; apply_repetition_penalties_aot.py:33:26
	s_and_saveexec_b64 s[4:5], s[0:1]
	s_cbranch_execnz .LBB0_12
	s_branch .LBB0_13
.LBB0_29:
	.loc	1 34 21                         ; apply_repetition_penalties_aot.py:34:21
	global_load_dword v3, v[0:1], off offset:2048
	s_or_b64 exec, exec, s[2:3]
	s_load_dword s10, s[14:15], 0x0
	s_and_saveexec_b64 s[2:3], s[0:1]
	s_cbranch_execz .LBB0_19
.LBB0_30:
	global_load_dword v2, v[0:1], off offset:3072
	s_or_b64 exec, exec, s[2:3]
	.loc	1 41 38                         ; apply_repetition_penalties_aot.py:41:38
	s_and_saveexec_b64 s[6:7], vcc
	s_cbranch_execz .LBB0_20
.LBB0_31:
	.loc	1 38 59                         ; apply_repetition_penalties_aot.py:38:59
	s_waitcnt vmcnt(0) lgkmcnt(0)
	v_div_scale_f32 v6, s[2:3], s10, s10, v5
	v_rcp_f32_e32 v7, v6
	.loc	1 38 37 is_stmt 0               ; apply_repetition_penalties_aot.py:38:37
	v_and_b32_e32 v11, 1, v11
	.loc	1 38 68                         ; apply_repetition_penalties_aot.py:38:68
	v_cmp_eq_u16_e64 s[4:5], 0, v11
	.loc	1 38 46                         ; apply_repetition_penalties_aot.py:38:46
	v_cmp_nlt_f32_e64 s[2:3], 0, v5
	.loc	1 38 59                         ; apply_repetition_penalties_aot.py:38:59
	v_fma_f32 v11, -v6, v7, 1.0
	v_fmac_f32_e32 v7, v11, v7
	v_div_scale_f32 v11, vcc, v5, s10, v5
	v_mul_f32_e32 v12, v11, v7
	v_fma_f32 v13, -v6, v12, v11
	v_fmac_f32_e32 v12, v13, v7
	v_fma_f32 v6, -v6, v12, v11
	v_div_fmas_f32 v6, v6, v7, v12
	v_div_fixup_f32 v6, v6, s10, v5
	.loc	1 38 37                         ; apply_repetition_penalties_aot.py:38:37
	s_or_b64 vcc, s[2:3], s[4:5]
	.loc	1 38 68                         ; apply_repetition_penalties_aot.py:38:68
	v_cndmask_b32_e32 v5, v6, v5, vcc
	.loc	1 39 47 is_stmt 1               ; apply_repetition_penalties_aot.py:39:47
	v_cmp_nge_f32_e32 vcc, 0, v5
	.loc	1 39 60 is_stmt 0               ; apply_repetition_penalties_aot.py:39:60
	v_mul_f32_e32 v6, s10, v5
	.loc	1 39 37                         ; apply_repetition_penalties_aot.py:39:37
	s_or_b64 vcc, vcc, s[4:5]
	.loc	1 39 69                         ; apply_repetition_penalties_aot.py:39:69
	v_cndmask_b32_e32 v5, v6, v5, vcc
	.loc	1 41 38 is_stmt 1               ; apply_repetition_penalties_aot.py:41:38
	global_store_dword v[0:1], v5, off
	s_or_b64 exec, exec, s[6:7]
	s_and_saveexec_b64 s[4:5], s[12:13]
	s_cbranch_execz .LBB0_21
.LBB0_32:
	.loc	1 38 59                         ; apply_repetition_penalties_aot.py:38:59
	s_waitcnt vmcnt(0) lgkmcnt(0)
	v_div_scale_f32 v5, s[2:3], s10, s10, v4
	v_rcp_f32_e32 v6, v5
	.loc	1 38 37 is_stmt 0               ; apply_repetition_penalties_aot.py:38:37
	v_and_b32_e32 v7, 1, v10
	.loc	1 38 46                         ; apply_repetition_penalties_aot.py:38:46
	v_cmp_nlt_f32_e64 s[2:3], 0, v4
	.loc	1 38 59                         ; apply_repetition_penalties_aot.py:38:59
	v_fma_f32 v10, -v5, v6, 1.0
	v_fmac_f32_e32 v6, v10, v6
	v_div_scale_f32 v10, vcc, v4, s10, v4
	v_mul_f32_e32 v11, v10, v6
	v_fma_f32 v12, -v5, v11, v10
	v_fmac_f32_e32 v11, v12, v6
	v_fma_f32 v5, -v5, v11, v10
	v_div_fmas_f32 v5, v5, v6, v11
	.loc	1 38 68                         ; apply_repetition_penalties_aot.py:38:68
	v_cmp_eq_u16_e32 vcc, 0, v7
	.loc	1 38 59                         ; apply_repetition_penalties_aot.py:38:59
	v_div_fixup_f32 v5, v5, s10, v4
	.loc	1 38 37                         ; apply_repetition_penalties_aot.py:38:37
	s_or_b64 s[2:3], s[2:3], vcc
	.loc	1 38 68                         ; apply_repetition_penalties_aot.py:38:68
	v_cndmask_b32_e64 v4, v5, v4, s[2:3]
	.loc	1 39 47 is_stmt 1               ; apply_repetition_penalties_aot.py:39:47
	v_cmp_nge_f32_e64 s[2:3], 0, v4
	.loc	1 39 60 is_stmt 0               ; apply_repetition_penalties_aot.py:39:60
	v_mul_f32_e32 v5, s10, v4
	.loc	1 39 37                         ; apply_repetition_penalties_aot.py:39:37
	s_or_b64 vcc, s[2:3], vcc
	.loc	1 39 69                         ; apply_repetition_penalties_aot.py:39:69
	v_cndmask_b32_e32 v4, v5, v4, vcc
	.loc	1 41 38 is_stmt 1               ; apply_repetition_penalties_aot.py:41:38
	global_store_dword v[0:1], v4, off offset:1024
	s_or_b64 exec, exec, s[4:5]
	s_and_saveexec_b64 s[4:5], s[8:9]
	s_cbranch_execz .LBB0_22
.LBB0_33:
	.loc	1 38 59                         ; apply_repetition_penalties_aot.py:38:59
	s_waitcnt vmcnt(0) lgkmcnt(0)
	v_div_scale_f32 v4, s[2:3], s10, s10, v3
	v_rcp_f32_e32 v5, v4
	.loc	1 38 37 is_stmt 0               ; apply_repetition_penalties_aot.py:38:37
	v_and_b32_e32 v6, 1, v9
	.loc	1 38 46                         ; apply_repetition_penalties_aot.py:38:46
	v_cmp_nlt_f32_e64 s[2:3], 0, v3
	.loc	1 38 59                         ; apply_repetition_penalties_aot.py:38:59
	v_fma_f32 v7, -v4, v5, 1.0
	v_fmac_f32_e32 v5, v7, v5
	v_div_scale_f32 v7, vcc, v3, s10, v3
	v_mul_f32_e32 v9, v7, v5
	v_fma_f32 v10, -v4, v9, v7
	v_fmac_f32_e32 v9, v10, v5
	v_fma_f32 v4, -v4, v9, v7
	v_div_fmas_f32 v4, v4, v5, v9
	.loc	1 38 68                         ; apply_repetition_penalties_aot.py:38:68
	v_cmp_eq_u16_e32 vcc, 0, v6
	.loc	1 38 59                         ; apply_repetition_penalties_aot.py:38:59
	v_div_fixup_f32 v4, v4, s10, v3
	.loc	1 38 37                         ; apply_repetition_penalties_aot.py:38:37
	s_or_b64 s[2:3], s[2:3], vcc
	.loc	1 38 68                         ; apply_repetition_penalties_aot.py:38:68
	v_cndmask_b32_e64 v3, v4, v3, s[2:3]
	.loc	1 39 47 is_stmt 1               ; apply_repetition_penalties_aot.py:39:47
	v_cmp_nge_f32_e64 s[2:3], 0, v3
	.loc	1 39 60 is_stmt 0               ; apply_repetition_penalties_aot.py:39:60
	v_mul_f32_e32 v4, s10, v3
	.loc	1 39 37                         ; apply_repetition_penalties_aot.py:39:37
	s_or_b64 vcc, s[2:3], vcc
	.loc	1 39 69                         ; apply_repetition_penalties_aot.py:39:69
	v_cndmask_b32_e32 v3, v4, v3, vcc
	.loc	1 41 38 is_stmt 1               ; apply_repetition_penalties_aot.py:41:38
	global_store_dword v[0:1], v3, off offset:2048
	s_or_b64 exec, exec, s[4:5]
	s_and_saveexec_b64 s[2:3], s[0:1]
	s_xor_b64 s[2:3], exec, s[2:3]
	s_cbranch_execnz .LBB0_23
	s_branch .LBB0_24
.Ltmp2:
	.section	.rodata,"a",@progbits
	.p2align	6, 0x0
	.amdhsa_kernel _repetition_penalty_kernel
		.amdhsa_group_segment_fixed_size 0
		.amdhsa_private_segment_fixed_size 0
		.amdhsa_kernarg_size 56
		.amdhsa_user_sgpr_count 16
		.amdhsa_user_sgpr_dispatch_ptr 0
		.amdhsa_user_sgpr_queue_ptr 0
		.amdhsa_user_sgpr_kernarg_segment_ptr 1
		.amdhsa_user_sgpr_dispatch_id 0
		.amdhsa_user_sgpr_kernarg_preload_length 14
		.amdhsa_user_sgpr_kernarg_preload_offset 0
		.amdhsa_user_sgpr_private_segment_size 0
		.amdhsa_uses_dynamic_stack 0
		.amdhsa_enable_private_segment 0
		.amdhsa_system_sgpr_workgroup_id_x 1
		.amdhsa_system_sgpr_workgroup_id_y 1
		.amdhsa_system_sgpr_workgroup_id_z 0
		.amdhsa_system_sgpr_workgroup_info 0
		.amdhsa_system_vgpr_workitem_id 0
		.amdhsa_next_free_vgpr 18
		.amdhsa_next_free_sgpr 18
		.amdhsa_accum_offset 20
		.amdhsa_reserve_vcc 1
		.amdhsa_reserve_xnack_mask 1
		.amdhsa_float_round_mode_32 0
		.amdhsa_float_round_mode_16_64 0
		.amdhsa_float_denorm_mode_32 3
		.amdhsa_float_denorm_mode_16_64 3
		.amdhsa_dx10_clamp 1
		.amdhsa_ieee_mode 1
		.amdhsa_fp16_overflow 0
		.amdhsa_tg_split 0
		.amdhsa_exception_fp_ieee_invalid_op 0
		.amdhsa_exception_fp_denorm_src 0
		.amdhsa_exception_fp_ieee_div_zero 0
		.amdhsa_exception_fp_ieee_overflow 0
		.amdhsa_exception_fp_ieee_underflow 0
		.amdhsa_exception_fp_ieee_inexact 0
		.amdhsa_exception_int_div_zero 0
	.end_amdhsa_kernel
	.text
.Lfunc_end0:
	.size	_repetition_penalty_kernel, .Lfunc_end0-_repetition_penalty_kernel
	.cfi_endproc
                                        ; -- End function
	.set _repetition_penalty_kernel.num_vgpr, 18
	.set _repetition_penalty_kernel.num_agpr, 0
	.set _repetition_penalty_kernel.numbered_sgpr, 18
	.set _repetition_penalty_kernel.num_named_barrier, 0
	.set _repetition_penalty_kernel.private_seg_size, 0
	.set _repetition_penalty_kernel.uses_vcc, 1
	.set _repetition_penalty_kernel.uses_flat_scratch, 0
	.set _repetition_penalty_kernel.has_dyn_sized_stack, 0
	.set _repetition_penalty_kernel.has_recursion, 0
	.set _repetition_penalty_kernel.has_indirect_call, 0
	.section	.AMDGPU.csdata,"",@progbits
; Kernel info:
; codeLenInByte = 1564
; TotalNumSgprs: 24
; NumVgprs: 18
; NumAgprs: 0
; TotalNumVgprs: 18
; ScratchSize: 0
; MemoryBound: 0
; FloatMode: 240
; IeeeMode: 1
; LDSByteSize: 0 bytes/workgroup (compile time only)
; SGPRBlocks: 2
; VGPRBlocks: 2
; NumSGPRsForWavesPerEU: 24
; NumVGPRsForWavesPerEU: 18
; AccumOffset: 20
; Occupancy: 8
; WaveLimiterHint : 0
; COMPUTE_PGM_RSRC2:SCRATCH_EN: 0
; COMPUTE_PGM_RSRC2:USER_SGPR: 16
; COMPUTE_PGM_RSRC2:TRAP_HANDLER: 0
; COMPUTE_PGM_RSRC2:TGID_X_EN: 1
; COMPUTE_PGM_RSRC2:TGID_Y_EN: 1
; COMPUTE_PGM_RSRC2:TGID_Z_EN: 0
; COMPUTE_PGM_RSRC2:TIDIG_COMP_CNT: 0
; COMPUTE_PGM_RSRC3_GFX90A:ACCUM_OFFSET: 4
; COMPUTE_PGM_RSRC3_GFX90A:TG_SPLIT: 0
	.text
	.p2alignl 6, 3212836864
	.fill 256, 4, 3212836864
	.section	.AMDGPU.gpr_maximums,"",@progbits
	.set amdgpu.max_num_vgpr, 0
	.set amdgpu.max_num_agpr, 0
	.set amdgpu.max_num_sgpr, 0
	.set amdgpu.max_num_named_barrier, 0
	.text
	.section	.debug_abbrev,"",@progbits
	.byte	1                               ; Abbreviation Code
	.byte	17                              ; DW_TAG_compile_unit
	.byte	0                               ; DW_CHILDREN_no
	.byte	37                              ; DW_AT_producer
	.byte	14                              ; DW_FORM_strp
	.byte	19                              ; DW_AT_language
	.byte	5                               ; DW_FORM_data2
	.byte	3                               ; DW_AT_name
	.byte	14                              ; DW_FORM_strp
	.byte	16                              ; DW_AT_stmt_list
	.byte	23                              ; DW_FORM_sec_offset
	.byte	27                              ; DW_AT_comp_dir
	.byte	14                              ; DW_FORM_strp
	.byte	17                              ; DW_AT_low_pc
	.byte	1                               ; DW_FORM_addr
	.byte	18                              ; DW_AT_high_pc
	.byte	6                               ; DW_FORM_data4
	.byte	0                               ; EOM(1)
	.byte	0                               ; EOM(2)
	;; [unrolled: 1-line block ×3, first 2 shown]
	.section	.debug_info,"",@progbits
.Lcu_begin0:
	.long	.Ldebug_info_end0-.Ldebug_info_start0 ; Length of Unit
.Ldebug_info_start0:
	.short	4                               ; DWARF version number
	.long	.debug_abbrev                   ; Offset Into Abbrev. Section
	.byte	8                               ; Address Size (in bytes)
	.byte	1                               ; Abbrev [1] 0xb:0x1f DW_TAG_compile_unit
	.long	.Linfo_string0                  ; DW_AT_producer
	.short	2                               ; DW_AT_language
	.long	.Linfo_string1                  ; DW_AT_name
	.long	.Lline_table_start0             ; DW_AT_stmt_list
	.long	.Linfo_string2                  ; DW_AT_comp_dir
	.quad	.Lfunc_begin0                   ; DW_AT_low_pc
	.long	.Lfunc_end0-.Lfunc_begin0       ; DW_AT_high_pc
.Ldebug_info_end0:
	.section	.debug_str,"MS",@progbits,1
.Linfo_string0:
	.asciz	"triton"                        ; string offset=0
.Linfo_string1:
	.asciz	"apply_repetition_penalties_aot.py" ; string offset=7
.Linfo_string2:
	.asciz	"/root/src/amdgpu-assembly/repos/FlagOpen__FlagGems/triton_aot_kernels" ; string offset=41
	.section	".note.GNU-stack","",@progbits
	.amdgpu_metadata
---
amdhsa.kernels:
  - .agpr_count:     0
    .args:
      - .address_space:  global
        .offset:         0
        .size:           8
        .value_kind:     global_buffer
      - .address_space:  global
        .offset:         8
        .size:           8
        .value_kind:     global_buffer
      - .address_space:  global
        .offset:         16
        .size:           8
        .value_kind:     global_buffer
      - .address_space:  global
        .offset:         24
        .size:           8
        .value_kind:     global_buffer
      - .offset:         32
        .size:           4
        .value_kind:     by_value
      - .offset:         36
        .size:           4
        .value_kind:     by_value
      - .address_space:  global
        .offset:         40
        .size:           8
        .value_kind:     global_buffer
      - .address_space:  global
        .offset:         48
        .size:           8
        .value_kind:     global_buffer
    .group_segment_fixed_size: 0
    .kernarg_segment_align: 8
    .kernarg_segment_size: 56
    .max_flat_workgroup_size: 256
    .name:           _repetition_penalty_kernel
    .private_segment_fixed_size: 0
    .sgpr_count:     24
    .sgpr_spill_count: 0
    .symbol:         _repetition_penalty_kernel.kd
    .uniform_work_group_size: 1
    .uses_dynamic_stack: false
    .vgpr_count:     18
    .vgpr_spill_count: 0
    .wavefront_size: 64
amdhsa.target:   amdgcn-amd-amdhsa--gfx950
amdhsa.version:
  - 1
  - 2
...

	.end_amdgpu_metadata
	.section	.debug_line,"",@progbits
.Lline_table_start0:
